;; amdgpu-corpus repo=ROCm/rocFFT kind=compiled arch=gfx906 opt=O3
	.text
	.amdgcn_target "amdgcn-amd-amdhsa--gfx906"
	.amdhsa_code_object_version 6
	.protected	fft_rtc_fwd_len528_factors_4_4_3_11_wgs_48_tpt_48_halfLds_dp_op_CI_CI_unitstride_sbrr_dirReg ; -- Begin function fft_rtc_fwd_len528_factors_4_4_3_11_wgs_48_tpt_48_halfLds_dp_op_CI_CI_unitstride_sbrr_dirReg
	.globl	fft_rtc_fwd_len528_factors_4_4_3_11_wgs_48_tpt_48_halfLds_dp_op_CI_CI_unitstride_sbrr_dirReg
	.p2align	8
	.type	fft_rtc_fwd_len528_factors_4_4_3_11_wgs_48_tpt_48_halfLds_dp_op_CI_CI_unitstride_sbrr_dirReg,@function
fft_rtc_fwd_len528_factors_4_4_3_11_wgs_48_tpt_48_halfLds_dp_op_CI_CI_unitstride_sbrr_dirReg: ; @fft_rtc_fwd_len528_factors_4_4_3_11_wgs_48_tpt_48_halfLds_dp_op_CI_CI_unitstride_sbrr_dirReg
; %bb.0:
	s_load_dwordx4 s[8:11], s[4:5], 0x58
	s_load_dwordx4 s[12:15], s[4:5], 0x0
	;; [unrolled: 1-line block ×3, first 2 shown]
	v_mul_u32_u24_e32 v1, 0x556, v0
	v_add_u32_sdwa v6, s6, v1 dst_sel:DWORD dst_unused:UNUSED_PAD src0_sel:DWORD src1_sel:WORD_1
	v_mov_b32_e32 v1, 0
	s_waitcnt lgkmcnt(0)
	v_cmp_lt_u64_e64 s[0:1], s[14:15], 2
	v_mov_b32_e32 v4, 0
	v_mov_b32_e32 v7, v1
	s_and_b64 vcc, exec, s[0:1]
	v_mov_b32_e32 v5, 0
	s_cbranch_vccnz .LBB0_8
; %bb.1:
	s_load_dwordx2 s[0:1], s[4:5], 0x10
	s_add_u32 s2, s18, 8
	s_addc_u32 s3, s19, 0
	s_add_u32 s6, s16, 8
	v_mov_b32_e32 v4, 0
	s_addc_u32 s7, s17, 0
	v_mov_b32_e32 v5, 0
	s_waitcnt lgkmcnt(0)
	s_add_u32 s20, s0, 8
	v_mov_b32_e32 v57, v5
	s_addc_u32 s21, s1, 0
	s_mov_b64 s[22:23], 1
	v_mov_b32_e32 v56, v4
.LBB0_2:                                ; =>This Inner Loop Header: Depth=1
	s_load_dwordx2 s[24:25], s[20:21], 0x0
                                        ; implicit-def: $vgpr58_vgpr59
	s_waitcnt lgkmcnt(0)
	v_or_b32_e32 v2, s25, v7
	v_cmp_ne_u64_e32 vcc, 0, v[1:2]
	s_and_saveexec_b64 s[0:1], vcc
	s_xor_b64 s[26:27], exec, s[0:1]
	s_cbranch_execz .LBB0_4
; %bb.3:                                ;   in Loop: Header=BB0_2 Depth=1
	v_cvt_f32_u32_e32 v2, s24
	v_cvt_f32_u32_e32 v3, s25
	s_sub_u32 s0, 0, s24
	s_subb_u32 s1, 0, s25
	v_mac_f32_e32 v2, 0x4f800000, v3
	v_rcp_f32_e32 v2, v2
	v_mul_f32_e32 v2, 0x5f7ffffc, v2
	v_mul_f32_e32 v3, 0x2f800000, v2
	v_trunc_f32_e32 v3, v3
	v_mac_f32_e32 v2, 0xcf800000, v3
	v_cvt_u32_f32_e32 v3, v3
	v_cvt_u32_f32_e32 v2, v2
	v_mul_lo_u32 v8, s0, v3
	v_mul_hi_u32 v9, s0, v2
	v_mul_lo_u32 v11, s1, v2
	v_mul_lo_u32 v10, s0, v2
	v_add_u32_e32 v8, v9, v8
	v_add_u32_e32 v8, v8, v11
	v_mul_hi_u32 v9, v2, v10
	v_mul_lo_u32 v11, v2, v8
	v_mul_hi_u32 v13, v2, v8
	v_mul_hi_u32 v12, v3, v10
	v_mul_lo_u32 v10, v3, v10
	v_mul_hi_u32 v14, v3, v8
	v_add_co_u32_e32 v9, vcc, v9, v11
	v_addc_co_u32_e32 v11, vcc, 0, v13, vcc
	v_mul_lo_u32 v8, v3, v8
	v_add_co_u32_e32 v9, vcc, v9, v10
	v_addc_co_u32_e32 v9, vcc, v11, v12, vcc
	v_addc_co_u32_e32 v10, vcc, 0, v14, vcc
	v_add_co_u32_e32 v8, vcc, v9, v8
	v_addc_co_u32_e32 v9, vcc, 0, v10, vcc
	v_add_co_u32_e32 v2, vcc, v2, v8
	v_addc_co_u32_e32 v3, vcc, v3, v9, vcc
	v_mul_lo_u32 v8, s0, v3
	v_mul_hi_u32 v9, s0, v2
	v_mul_lo_u32 v10, s1, v2
	v_mul_lo_u32 v11, s0, v2
	v_add_u32_e32 v8, v9, v8
	v_add_u32_e32 v8, v8, v10
	v_mul_lo_u32 v12, v2, v8
	v_mul_hi_u32 v13, v2, v11
	v_mul_hi_u32 v14, v2, v8
	v_mul_hi_u32 v10, v3, v11
	v_mul_lo_u32 v11, v3, v11
	v_mul_hi_u32 v9, v3, v8
	v_add_co_u32_e32 v12, vcc, v13, v12
	v_addc_co_u32_e32 v13, vcc, 0, v14, vcc
	v_mul_lo_u32 v8, v3, v8
	v_add_co_u32_e32 v11, vcc, v12, v11
	v_addc_co_u32_e32 v10, vcc, v13, v10, vcc
	v_addc_co_u32_e32 v9, vcc, 0, v9, vcc
	v_add_co_u32_e32 v8, vcc, v10, v8
	v_addc_co_u32_e32 v9, vcc, 0, v9, vcc
	v_add_co_u32_e32 v8, vcc, v2, v8
	v_addc_co_u32_e32 v9, vcc, v3, v9, vcc
	v_mad_u64_u32 v[2:3], s[0:1], v6, v9, 0
	v_mul_hi_u32 v10, v6, v8
	v_add_co_u32_e32 v10, vcc, v10, v2
	v_addc_co_u32_e32 v11, vcc, 0, v3, vcc
	v_mad_u64_u32 v[2:3], s[0:1], v7, v8, 0
	v_mad_u64_u32 v[8:9], s[0:1], v7, v9, 0
	v_add_co_u32_e32 v2, vcc, v10, v2
	v_addc_co_u32_e32 v2, vcc, v11, v3, vcc
	v_addc_co_u32_e32 v3, vcc, 0, v9, vcc
	v_add_co_u32_e32 v8, vcc, v2, v8
	v_addc_co_u32_e32 v9, vcc, 0, v3, vcc
	v_mul_lo_u32 v10, s25, v8
	v_mul_lo_u32 v11, s24, v9
	v_mad_u64_u32 v[2:3], s[0:1], s24, v8, 0
	v_add3_u32 v3, v3, v11, v10
	v_sub_u32_e32 v10, v7, v3
	v_mov_b32_e32 v11, s25
	v_sub_co_u32_e32 v2, vcc, v6, v2
	v_subb_co_u32_e64 v10, s[0:1], v10, v11, vcc
	v_subrev_co_u32_e64 v11, s[0:1], s24, v2
	v_subbrev_co_u32_e64 v10, s[0:1], 0, v10, s[0:1]
	v_cmp_le_u32_e64 s[0:1], s25, v10
	v_cndmask_b32_e64 v12, 0, -1, s[0:1]
	v_cmp_le_u32_e64 s[0:1], s24, v11
	v_cndmask_b32_e64 v11, 0, -1, s[0:1]
	v_cmp_eq_u32_e64 s[0:1], s25, v10
	v_cndmask_b32_e64 v10, v12, v11, s[0:1]
	v_add_co_u32_e64 v11, s[0:1], 2, v8
	v_addc_co_u32_e64 v12, s[0:1], 0, v9, s[0:1]
	v_add_co_u32_e64 v13, s[0:1], 1, v8
	v_addc_co_u32_e64 v14, s[0:1], 0, v9, s[0:1]
	v_subb_co_u32_e32 v3, vcc, v7, v3, vcc
	v_cmp_ne_u32_e64 s[0:1], 0, v10
	v_cmp_le_u32_e32 vcc, s25, v3
	v_cndmask_b32_e64 v10, v14, v12, s[0:1]
	v_cndmask_b32_e64 v12, 0, -1, vcc
	v_cmp_le_u32_e32 vcc, s24, v2
	v_cndmask_b32_e64 v2, 0, -1, vcc
	v_cmp_eq_u32_e32 vcc, s25, v3
	v_cndmask_b32_e32 v2, v12, v2, vcc
	v_cmp_ne_u32_e32 vcc, 0, v2
	v_cndmask_b32_e64 v2, v13, v11, s[0:1]
	v_cndmask_b32_e32 v59, v9, v10, vcc
	v_cndmask_b32_e32 v58, v8, v2, vcc
.LBB0_4:                                ;   in Loop: Header=BB0_2 Depth=1
	s_andn2_saveexec_b64 s[0:1], s[26:27]
	s_cbranch_execz .LBB0_6
; %bb.5:                                ;   in Loop: Header=BB0_2 Depth=1
	v_cvt_f32_u32_e32 v2, s24
	s_sub_i32 s26, 0, s24
	v_mov_b32_e32 v59, v1
	v_rcp_iflag_f32_e32 v2, v2
	v_mul_f32_e32 v2, 0x4f7ffffe, v2
	v_cvt_u32_f32_e32 v2, v2
	v_mul_lo_u32 v3, s26, v2
	v_mul_hi_u32 v3, v2, v3
	v_add_u32_e32 v2, v2, v3
	v_mul_hi_u32 v2, v6, v2
	v_mul_lo_u32 v3, v2, s24
	v_add_u32_e32 v8, 1, v2
	v_sub_u32_e32 v3, v6, v3
	v_subrev_u32_e32 v9, s24, v3
	v_cmp_le_u32_e32 vcc, s24, v3
	v_cndmask_b32_e32 v3, v3, v9, vcc
	v_cndmask_b32_e32 v2, v2, v8, vcc
	v_add_u32_e32 v8, 1, v2
	v_cmp_le_u32_e32 vcc, s24, v3
	v_cndmask_b32_e32 v58, v2, v8, vcc
.LBB0_6:                                ;   in Loop: Header=BB0_2 Depth=1
	s_or_b64 exec, exec, s[0:1]
	v_mul_lo_u32 v8, v59, s24
	v_mul_lo_u32 v9, v58, s25
	v_mad_u64_u32 v[2:3], s[0:1], v58, s24, 0
	s_load_dwordx2 s[0:1], s[6:7], 0x0
	s_load_dwordx2 s[24:25], s[2:3], 0x0
	v_add3_u32 v3, v3, v9, v8
	v_sub_co_u32_e32 v2, vcc, v6, v2
	v_subb_co_u32_e32 v3, vcc, v7, v3, vcc
	s_waitcnt lgkmcnt(0)
	v_mul_lo_u32 v6, s0, v3
	v_mul_lo_u32 v7, s1, v2
	v_mad_u64_u32 v[4:5], s[0:1], s0, v2, v[4:5]
	v_mul_lo_u32 v3, s24, v3
	v_mul_lo_u32 v8, s25, v2
	v_mad_u64_u32 v[56:57], s[0:1], s24, v2, v[56:57]
	s_add_u32 s22, s22, 1
	s_addc_u32 s23, s23, 0
	s_add_u32 s2, s2, 8
	v_add3_u32 v57, v8, v57, v3
	s_addc_u32 s3, s3, 0
	v_mov_b32_e32 v2, s14
	s_add_u32 s6, s6, 8
	v_mov_b32_e32 v3, s15
	s_addc_u32 s7, s7, 0
	v_cmp_ge_u64_e32 vcc, s[22:23], v[2:3]
	s_add_u32 s20, s20, 8
	v_add3_u32 v5, v7, v5, v6
	s_addc_u32 s21, s21, 0
	s_cbranch_vccnz .LBB0_9
; %bb.7:                                ;   in Loop: Header=BB0_2 Depth=1
	v_mov_b32_e32 v6, v58
	v_mov_b32_e32 v7, v59
	s_branch .LBB0_2
.LBB0_8:
	v_mov_b32_e32 v57, v5
	v_mov_b32_e32 v59, v7
	;; [unrolled: 1-line block ×4, first 2 shown]
.LBB0_9:
	s_load_dwordx2 s[0:1], s[4:5], 0x28
	s_lshl_b64 s[6:7], s[14:15], 3
	s_add_u32 s4, s18, s6
	s_addc_u32 s5, s19, s7
                                        ; implicit-def: $sgpr14
                                        ; implicit-def: $vgpr69
	s_waitcnt lgkmcnt(0)
	v_cmp_gt_u64_e32 vcc, s[0:1], v[58:59]
	v_cmp_le_u64_e64 s[0:1], s[0:1], v[58:59]
	s_and_saveexec_b64 s[2:3], s[0:1]
	s_xor_b64 s[0:1], exec, s[2:3]
; %bb.10:
	s_mov_b32 s2, 0x5555556
	v_mul_hi_u32 v1, v0, s2
	s_mov_b32 s14, 0
                                        ; implicit-def: $vgpr4_vgpr5
	v_mul_u32_u24_e32 v1, 48, v1
	v_sub_u32_e32 v69, v0, v1
                                        ; implicit-def: $vgpr0
; %bb.11:
	s_or_saveexec_b64 s[2:3], s[0:1]
	s_load_dwordx2 s[4:5], s[4:5], 0x0
	v_mov_b32_e32 v60, s14
                                        ; implicit-def: $vgpr16_vgpr17
                                        ; implicit-def: $vgpr36_vgpr37
                                        ; implicit-def: $vgpr24_vgpr25
                                        ; implicit-def: $vgpr32_vgpr33
                                        ; implicit-def: $vgpr42_vgpr43
                                        ; implicit-def: $vgpr46_vgpr47
                                        ; implicit-def: $vgpr6_vgpr7
                                        ; implicit-def: $vgpr28_vgpr29
                                        ; implicit-def: $vgpr2_vgpr3
                                        ; implicit-def: $vgpr20_vgpr21
                                        ; implicit-def: $vgpr50_vgpr51
                                        ; implicit-def: $vgpr12_vgpr13
	s_xor_b64 exec, exec, s[2:3]
	s_cbranch_execz .LBB0_15
; %bb.12:
	s_add_u32 s0, s16, s6
	s_addc_u32 s1, s17, s7
	s_load_dwordx2 s[0:1], s[0:1], 0x0
	s_mov_b32 s6, 0x5555556
	v_mul_hi_u32 v3, v0, s6
                                        ; implicit-def: $vgpr26_vgpr27
                                        ; implicit-def: $vgpr44_vgpr45
                                        ; implicit-def: $vgpr40_vgpr41
	s_waitcnt lgkmcnt(0)
	v_mul_lo_u32 v6, s1, v58
	v_mul_lo_u32 v7, s0, v59
	v_mad_u64_u32 v[1:2], s[0:1], s0, v58, 0
	v_mul_u32_u24_e32 v3, 48, v3
	v_sub_u32_e32 v69, v0, v3
	v_add3_u32 v2, v2, v7, v6
	v_lshlrev_b64 v[0:1], 4, v[1:2]
	v_mov_b32_e32 v2, s9
	v_add_co_u32_e64 v3, s[0:1], s8, v0
	v_addc_co_u32_e64 v2, s[0:1], v2, v1, s[0:1]
	v_lshlrev_b64 v[0:1], 4, v[4:5]
                                        ; implicit-def: $vgpr4_vgpr5
	v_add_co_u32_e64 v0, s[0:1], v3, v0
	v_addc_co_u32_e64 v1, s[0:1], v2, v1, s[0:1]
	v_lshlrev_b32_e32 v2, 4, v69
	v_add_co_u32_e64 v8, s[0:1], v0, v2
	v_addc_co_u32_e64 v9, s[0:1], 0, v1, s[0:1]
	s_movk_i32 s0, 0x1000
	v_add_co_u32_e64 v38, s[0:1], s0, v8
	v_addc_co_u32_e64 v39, s[0:1], 0, v9, s[0:1]
	global_load_dwordx4 v[10:13], v[8:9], off
	global_load_dwordx4 v[18:21], v[8:9], off offset:768
	global_load_dwordx4 v[14:17], v[8:9], off offset:2112
	;; [unrolled: 1-line block ×7, first 2 shown]
	v_cmp_gt_u32_e64 s[0:1], 36, v69
	s_and_saveexec_b64 s[6:7], s[0:1]
	s_cbranch_execz .LBB0_14
; %bb.13:
	global_load_dwordx4 v[26:29], v[8:9], off offset:1536
	global_load_dwordx4 v[40:43], v[8:9], off offset:3648
	;; [unrolled: 1-line block ×4, first 2 shown]
.LBB0_14:
	s_or_b64 exec, exec, s[6:7]
	v_mov_b32_e32 v60, v69
.LBB0_15:
	s_or_b64 exec, exec, s[2:3]
	s_waitcnt vmcnt(3)
	v_add_f64 v[8:9], v[10:11], -v[34:35]
	s_waitcnt vmcnt(1)
	v_add_f64 v[34:35], v[14:15], -v[48:49]
	v_add_f64 v[48:49], v[18:19], -v[30:31]
	s_waitcnt vmcnt(0)
	v_add_f64 v[30:31], v[22:23], -v[0:1]
	v_add_f64 v[63:64], v[26:27], -v[44:45]
	;; [unrolled: 1-line block ×4, first 2 shown]
	v_add_u32_e32 v71, 48, v69
	v_fma_f64 v[10:11], v[10:11], 2.0, -v[8:9]
	v_fma_f64 v[0:1], v[14:15], 2.0, -v[34:35]
	v_add_f64 v[14:15], v[24:25], -v[2:3]
	v_fma_f64 v[52:53], v[18:19], 2.0, -v[48:49]
	v_fma_f64 v[2:3], v[22:23], 2.0, -v[30:31]
	;; [unrolled: 1-line block ×3, first 2 shown]
	v_add_f64 v[18:19], v[42:43], -v[6:7]
	v_fma_f64 v[22:23], v[40:41], 2.0, -v[44:45]
	v_add_f64 v[6:7], v[8:9], -v[61:62]
	v_add_f64 v[4:5], v[10:11], -v[0:1]
	;; [unrolled: 1-line block ×3, first 2 shown]
	v_add_u32_e32 v72, 0x60, v69
	v_add_f64 v[38:39], v[52:53], -v[2:3]
	v_lshl_add_u32 v26, v69, 5, 0
	v_add_f64 v[2:3], v[63:64], -v[18:19]
	v_add_f64 v[0:1], v[65:66], -v[22:23]
	v_fma_f64 v[50:51], v[8:9], 2.0, -v[6:7]
	v_lshl_add_u32 v23, v71, 5, 0
	v_fma_f64 v[54:55], v[48:49], 2.0, -v[40:41]
	v_fma_f64 v[48:49], v[10:11], 2.0, -v[4:5]
	;; [unrolled: 1-line block ×3, first 2 shown]
	v_cmp_gt_u32_e64 s[0:1], 36, v69
	v_fma_f64 v[10:11], v[63:64], 2.0, -v[2:3]
	v_fma_f64 v[8:9], v[65:66], 2.0, -v[0:1]
	v_lshl_add_u32 v22, v72, 5, 0
	ds_write_b128 v26, v[4:7] offset:16
	ds_write_b128 v23, v[38:41] offset:16
	ds_write_b128 v26, v[48:51]
	ds_write_b128 v23, v[52:55]
	s_and_saveexec_b64 s[2:3], s[0:1]
	s_cbranch_execz .LBB0_17
; %bb.16:
	ds_write_b128 v22, v[8:11]
	ds_write_b128 v22, v[0:3] offset:16
.LBB0_17:
	s_or_b64 exec, exec, s[2:3]
	s_movk_i32 s2, 0xffe8
	v_mad_i32_i24 v4, v69, s2, v26
	v_add_u32_e32 v27, 0x800, v4
	s_waitcnt lgkmcnt(0)
	; wave barrier
	s_waitcnt lgkmcnt(0)
	ds_read2_b64 v[38:41], v4 offset1:48
	ds_read2_b64 v[48:51], v4 offset0:132 offset1:180
	ds_read2_b64 v[4:7], v27 offset0:8 offset1:56
	;; [unrolled: 1-line block ×3, first 2 shown]
	v_mul_i32_i24_e32 v27, 0xffffffe8, v69
	v_add_u32_e32 v70, v26, v27
	s_and_saveexec_b64 s[2:3], s[0:1]
	s_cbranch_execz .LBB0_19
; %bb.18:
	v_add_u32_e32 v0, 0x800, v70
	ds_read2_b64 v[8:11], v70 offset0:96 offset1:228
	ds_read2_b64 v[0:3], v0 offset0:104 offset1:236
.LBB0_19:
	s_or_b64 exec, exec, s[2:3]
	v_add_f64 v[63:64], v[12:13], -v[36:37]
	v_add_f64 v[46:47], v[28:29], -v[46:47]
	;; [unrolled: 1-line block ×3, first 2 shown]
	v_fma_f64 v[16:17], v[16:17], 2.0, -v[61:62]
	v_fma_f64 v[14:15], v[24:25], 2.0, -v[14:15]
	;; [unrolled: 1-line block ×3, first 2 shown]
	s_waitcnt lgkmcnt(0)
	; wave barrier
	s_waitcnt lgkmcnt(0)
	v_fma_f64 v[12:13], v[12:13], 2.0, -v[63:64]
	v_fma_f64 v[27:28], v[28:29], 2.0, -v[46:47]
	v_fma_f64 v[20:21], v[20:21], 2.0, -v[65:66]
	v_add_f64 v[36:37], v[30:31], v[65:66]
	v_add_f64 v[18:19], v[44:45], v[46:47]
	;; [unrolled: 1-line block ×3, first 2 shown]
	v_add_f64 v[30:31], v[12:13], -v[16:17]
	v_add_f64 v[16:17], v[27:28], -v[24:25]
	;; [unrolled: 1-line block ×3, first 2 shown]
	v_fma_f64 v[14:15], v[46:47], 2.0, -v[18:19]
	v_fma_f64 v[44:45], v[63:64], 2.0, -v[32:33]
	;; [unrolled: 1-line block ×6, first 2 shown]
	ds_write_b128 v26, v[30:33] offset:16
	ds_write_b128 v26, v[42:45]
	ds_write_b128 v23, v[61:64]
	ds_write_b128 v23, v[34:37] offset:16
	s_and_saveexec_b64 s[2:3], s[0:1]
	s_cbranch_execz .LBB0_21
; %bb.20:
	ds_write_b128 v22, v[12:15]
	ds_write_b128 v22, v[16:19] offset:16
.LBB0_21:
	s_or_b64 exec, exec, s[2:3]
	v_add_u32_e32 v32, 0x800, v70
	s_waitcnt lgkmcnt(0)
	; wave barrier
	s_waitcnt lgkmcnt(0)
	ds_read2_b64 v[20:23], v70 offset1:48
	ds_read2_b64 v[28:31], v70 offset0:132 offset1:180
	ds_read2_b64 v[24:27], v32 offset0:8 offset1:56
	ds_read2_b64 v[42:45], v32 offset0:140 offset1:188
	v_lshlrev_b32_e32 v37, 2, v69
	v_lshlrev_b32_e32 v36, 2, v71
	s_and_saveexec_b64 s[2:3], s[0:1]
	s_cbranch_execz .LBB0_23
; %bb.22:
	ds_read2_b64 v[12:15], v70 offset0:96 offset1:228
	ds_read2_b64 v[16:19], v32 offset0:104 offset1:236
.LBB0_23:
	s_or_b64 exec, exec, s[2:3]
	v_and_b32_e32 v74, 3, v69
	v_mul_u32_u24_e32 v32, 3, v74
	v_lshlrev_b32_e32 v46, 4, v32
	global_load_dwordx4 v[65:68], v46, s[12:13]
	global_load_dwordx4 v[32:35], v46, s[12:13] offset:16
	global_load_dwordx4 v[75:78], v46, s[12:13] offset:32
	s_movk_i32 s2, 0xf0
	v_and_or_b32 v73, v37, s2, v74
	s_movk_i32 s3, 0x1f0
	s_waitcnt lgkmcnt(0)
	; wave barrier
	s_waitcnt vmcnt(2) lgkmcnt(0)
	v_mul_f64 v[46:47], v[28:29], v[67:68]
	v_mul_f64 v[61:62], v[48:49], v[67:68]
	s_waitcnt vmcnt(1)
	v_mul_f64 v[63:64], v[24:25], v[34:35]
	s_waitcnt vmcnt(0)
	v_mul_f64 v[79:80], v[42:43], v[77:78]
	v_mul_f64 v[83:84], v[30:31], v[67:68]
	;; [unrolled: 1-line block ×12, first 2 shown]
	v_fma_f64 v[46:47], v[48:49], v[65:66], -v[46:47]
	v_fma_f64 v[61:62], v[28:29], v[65:66], v[61:62]
	v_fma_f64 v[28:29], v[4:5], v[32:33], -v[63:64]
	v_fma_f64 v[48:49], v[52:53], v[75:76], -v[79:80]
	;; [unrolled: 1-line block ×3, first 2 shown]
	v_fma_f64 v[63:64], v[30:31], v[65:66], v[85:86]
	v_fma_f64 v[30:31], v[6:7], v[32:33], -v[87:88]
	v_fma_f64 v[54:55], v[54:55], v[75:76], -v[89:90]
	v_fma_f64 v[42:43], v[42:43], v[75:76], v[81:82]
	v_fma_f64 v[44:45], v[44:45], v[75:76], v[91:92]
	v_fma_f64 v[10:11], v[10:11], v[65:66], -v[93:94]
	v_fma_f64 v[14:15], v[14:15], v[65:66], v[67:68]
	v_fma_f64 v[79:80], v[0:1], v[32:33], -v[95:96]
	v_add_f64 v[81:82], v[38:39], -v[28:29]
	v_add_f64 v[52:53], v[46:47], -v[48:49]
	v_fma_f64 v[2:3], v[2:3], v[75:76], -v[97:98]
	v_fma_f64 v[18:19], v[18:19], v[75:76], v[77:78]
	v_add_f64 v[30:31], v[40:41], -v[30:31]
	v_add_f64 v[54:55], v[50:51], -v[54:55]
	;; [unrolled: 1-line block ×4, first 2 shown]
	v_fma_f64 v[37:38], v[38:39], 2.0, -v[81:82]
	v_fma_f64 v[28:29], v[46:47], 2.0, -v[52:53]
	v_add_f64 v[43:44], v[8:9], -v[79:80]
	v_add_f64 v[2:3], v[10:11], -v[2:3]
	;; [unrolled: 1-line block ×3, first 2 shown]
	v_fma_f64 v[39:40], v[40:41], 2.0, -v[30:31]
	v_fma_f64 v[41:42], v[50:51], 2.0, -v[54:55]
	v_add_f64 v[45:46], v[81:82], -v[67:68]
	v_add_f64 v[50:51], v[30:31], -v[65:66]
	;; [unrolled: 1-line block ×3, first 2 shown]
	v_fma_f64 v[28:29], v[8:9], 2.0, -v[43:44]
	v_fma_f64 v[8:9], v[10:11], 2.0, -v[2:3]
	v_add_f64 v[48:49], v[43:44], -v[18:19]
	v_and_or_b32 v47, v36, s3, v74
	v_add_f64 v[41:42], v[39:40], -v[41:42]
	v_fma_f64 v[79:80], v[81:82], 2.0, -v[45:46]
	v_fma_f64 v[30:31], v[30:31], 2.0, -v[50:51]
	;; [unrolled: 1-line block ×3, first 2 shown]
	v_lshl_add_u32 v75, v73, 3, 0
	v_add_f64 v[10:11], v[28:29], -v[8:9]
	v_fma_f64 v[8:9], v[43:44], 2.0, -v[48:49]
	v_lshl_add_u32 v76, v47, 3, 0
	v_fma_f64 v[38:39], v[39:40], 2.0, -v[41:42]
	ds_write2_b64 v75, v[77:78], v[45:46] offset0:8 offset1:12
	ds_write2_b64 v75, v[36:37], v[79:80] offset1:4
	ds_write2_b64 v76, v[38:39], v[30:31] offset1:4
	ds_write2_b64 v76, v[41:42], v[50:51] offset0:8 offset1:12
	v_lshlrev_b32_e32 v77, 2, v72
	s_and_saveexec_b64 s[2:3], s[0:1]
	s_cbranch_execz .LBB0_25
; %bb.24:
	v_fma_f64 v[28:29], v[28:29], 2.0, -v[10:11]
	s_movk_i32 s6, 0x3f0
	v_and_or_b32 v30, v77, s6, v74
	v_lshl_add_u32 v30, v30, 3, 0
	ds_write2_b64 v30, v[28:29], v[8:9] offset1:4
	ds_write2_b64 v30, v[10:11], v[48:49] offset0:8 offset1:12
.LBB0_25:
	s_or_b64 exec, exec, s[2:3]
	v_add_u32_e32 v40, 0x800, v70
	v_lshl_add_u32 v73, v69, 3, 0
	s_waitcnt lgkmcnt(0)
	; wave barrier
	s_waitcnt lgkmcnt(0)
	ds_read2_b64 v[28:31], v70 offset1:48
	ds_read2_b64 v[44:47], v70 offset0:176 offset1:224
	ds_read2_b64 v[36:39], v40 offset0:16 offset1:96
	;; [unrolled: 1-line block ×3, first 2 shown]
	ds_read_b64 v[50:51], v73 offset:768
	v_cmp_gt_u32_e64 s[2:3], 32, v69
	s_and_saveexec_b64 s[6:7], s[2:3]
	s_cbranch_execz .LBB0_27
; %bb.26:
	v_add_u32_e32 v8, 0x400, v73
	ds_read2_b64 v[8:11], v8 offset0:16 offset1:192
	ds_read_b64 v[48:49], v70 offset:3968
.LBB0_27:
	s_or_b64 exec, exec, s[6:7]
	v_mul_f64 v[4:5], v[4:5], v[34:35]
	v_mul_f64 v[6:7], v[6:7], v[34:35]
	;; [unrolled: 1-line block ×3, first 2 shown]
	v_fma_f64 v[14:15], v[14:15], 2.0, -v[18:19]
	s_waitcnt lgkmcnt(0)
	; wave barrier
	s_waitcnt lgkmcnt(0)
	v_fma_f64 v[4:5], v[24:25], v[32:33], v[4:5]
	v_fma_f64 v[6:7], v[26:27], v[32:33], v[6:7]
	;; [unrolled: 1-line block ×3, first 2 shown]
	v_fma_f64 v[16:17], v[61:62], 2.0, -v[67:68]
	v_fma_f64 v[24:25], v[63:64], 2.0, -v[65:66]
	v_add_f64 v[4:5], v[20:21], -v[4:5]
	v_add_f64 v[6:7], v[22:23], -v[6:7]
	;; [unrolled: 1-line block ×3, first 2 shown]
	v_fma_f64 v[20:21], v[20:21], 2.0, -v[4:5]
	v_fma_f64 v[22:23], v[22:23], 2.0, -v[6:7]
	v_add_f64 v[18:19], v[4:5], v[52:53]
	v_add_f64 v[34:35], v[6:7], v[54:55]
	v_fma_f64 v[0:1], v[12:13], 2.0, -v[32:33]
	v_add_f64 v[26:27], v[32:33], v[2:3]
	v_add_f64 v[16:17], v[20:21], -v[16:17]
	v_add_f64 v[24:25], v[22:23], -v[24:25]
	v_fma_f64 v[2:3], v[4:5], 2.0, -v[18:19]
	v_fma_f64 v[12:13], v[6:7], 2.0, -v[34:35]
	v_add_f64 v[6:7], v[0:1], -v[14:15]
	v_fma_f64 v[4:5], v[32:33], 2.0, -v[26:27]
	v_fma_f64 v[20:21], v[20:21], 2.0, -v[16:17]
	;; [unrolled: 1-line block ×3, first 2 shown]
	ds_write2_b64 v75, v[16:17], v[18:19] offset0:8 offset1:12
	ds_write2_b64 v75, v[20:21], v[2:3] offset1:4
	ds_write2_b64 v76, v[22:23], v[12:13] offset1:4
	ds_write2_b64 v76, v[24:25], v[34:35] offset0:8 offset1:12
	s_and_saveexec_b64 s[6:7], s[0:1]
	s_cbranch_execz .LBB0_29
; %bb.28:
	v_fma_f64 v[0:1], v[0:1], 2.0, -v[6:7]
	s_movk_i32 s0, 0x3f0
	v_and_or_b32 v2, v77, s0, v74
	v_lshl_add_u32 v2, v2, 3, 0
	ds_write2_b64 v2, v[0:1], v[4:5] offset1:4
	ds_write2_b64 v2, v[6:7], v[26:27] offset0:8 offset1:12
.LBB0_29:
	s_or_b64 exec, exec, s[6:7]
	v_add_u32_e32 v16, 0x800, v70
	s_waitcnt lgkmcnt(0)
	; wave barrier
	s_waitcnt lgkmcnt(0)
	ds_read2_b64 v[0:3], v70 offset1:48
	ds_read2_b64 v[20:23], v70 offset0:176 offset1:224
	ds_read2_b64 v[12:15], v16 offset0:16 offset1:96
	;; [unrolled: 1-line block ×3, first 2 shown]
	ds_read_b64 v[24:25], v73 offset:768
	s_and_saveexec_b64 s[0:1], s[2:3]
	s_cbranch_execz .LBB0_31
; %bb.30:
	v_add_u32_e32 v4, 0x400, v73
	ds_read2_b64 v[4:7], v4 offset0:16 offset1:192
	ds_read_b64 v[26:27], v70 offset:3968
.LBB0_31:
	s_or_b64 exec, exec, s[0:1]
	v_and_b32_e32 v54, 15, v69
	v_lshlrev_b32_e32 v32, 5, v54
	global_load_dwordx4 v[63:66], v32, s[12:13] offset:192
	global_load_dwordx4 v[74:77], v32, s[12:13] offset:208
	v_lshrrev_b32_e32 v32, 4, v69
	v_lshrrev_b32_e32 v33, 4, v71
	v_mul_u32_u24_e32 v32, 48, v32
	v_mul_u32_u24_e32 v33, 48, v33
	v_or_b32_e32 v32, v32, v54
	v_or_b32_e32 v33, v33, v54
	v_lshl_add_u32 v61, v32, 3, 0
	v_lshl_add_u32 v55, v33, 3, 0
	v_lshrrev_b32_e32 v34, 4, v72
	v_mul_u32_u24_e32 v34, 48, v34
	v_or_b32_e32 v34, v34, v54
	v_lshl_add_u32 v62, v34, 3, 0
	s_mov_b32 s0, 0xe8584caa
	s_mov_b32 s1, 0x3febb67a
	;; [unrolled: 1-line block ×4, first 2 shown]
	v_add_u32_e32 v98, 0x90, v69
	s_waitcnt lgkmcnt(0)
	; wave barrier
	s_waitcnt vmcnt(1) lgkmcnt(0)
	v_mul_f64 v[32:33], v[20:21], v[65:66]
	s_waitcnt vmcnt(0)
	v_mul_f64 v[67:68], v[14:15], v[76:77]
	v_mul_f64 v[52:53], v[44:45], v[65:66]
	;; [unrolled: 1-line block ×9, first 2 shown]
	v_fma_f64 v[34:35], v[44:45], v[63:64], -v[32:33]
	v_fma_f64 v[38:39], v[38:39], v[74:75], -v[67:68]
	v_mul_f64 v[84:85], v[40:41], v[76:77]
	v_mul_f64 v[88:89], v[36:37], v[65:66]
	;; [unrolled: 1-line block ×3, first 2 shown]
	v_fma_f64 v[52:53], v[20:21], v[63:64], v[52:53]
	v_fma_f64 v[20:21], v[46:47], v[63:64], -v[78:79]
	v_fma_f64 v[40:41], v[40:41], v[74:75], -v[82:83]
	v_mul_f64 v[65:66], v[10:11], v[65:66]
	v_fma_f64 v[44:45], v[22:23], v[63:64], v[80:81]
	v_fma_f64 v[22:23], v[36:37], v[63:64], -v[86:87]
	v_fma_f64 v[36:37], v[42:43], v[74:75], -v[90:91]
	v_fma_f64 v[14:15], v[14:15], v[74:75], v[71:72]
	v_fma_f64 v[32:33], v[10:11], v[63:64], -v[94:95]
	v_add_f64 v[10:11], v[34:35], v[38:39]
	v_fma_f64 v[16:17], v[16:17], v[74:75], v[84:85]
	v_fma_f64 v[42:43], v[12:13], v[63:64], v[88:89]
	;; [unrolled: 1-line block ×3, first 2 shown]
	v_add_f64 v[18:19], v[20:21], v[40:41]
	v_fma_f64 v[6:7], v[6:7], v[63:64], v[65:66]
	v_add_f64 v[63:64], v[22:23], v[36:37]
	v_add_f64 v[46:47], v[28:29], v[34:35]
	v_add_f64 v[65:66], v[52:53], -v[14:15]
	v_add_f64 v[67:68], v[30:31], v[20:21]
	v_add_f64 v[71:72], v[50:51], v[22:23]
	v_fma_f64 v[10:11], v[10:11], -0.5, v[28:29]
	v_mul_f64 v[96:97], v[26:27], v[76:77]
	v_mul_f64 v[76:77], v[48:49], v[76:77]
	v_add_f64 v[28:29], v[44:45], -v[16:17]
	v_fma_f64 v[18:19], v[18:19], -0.5, v[30:31]
	v_add_f64 v[30:31], v[42:43], -v[12:13]
	v_fma_f64 v[50:51], v[63:64], -0.5, v[50:51]
	v_add_f64 v[46:47], v[46:47], v[38:39]
	v_add_f64 v[63:64], v[67:68], v[40:41]
	;; [unrolled: 1-line block ×3, first 2 shown]
	v_fma_f64 v[71:72], v[65:66], s[0:1], v[10:11]
	v_fma_f64 v[10:11], v[65:66], s[6:7], v[10:11]
	;; [unrolled: 1-line block ×4, first 2 shown]
	v_fma_f64 v[28:29], v[48:49], v[74:75], -v[96:97]
	v_fma_f64 v[26:27], v[26:27], v[74:75], v[76:77]
	v_fma_f64 v[78:79], v[30:31], s[0:1], v[50:51]
	;; [unrolled: 1-line block ×3, first 2 shown]
	ds_write2_b64 v61, v[46:47], v[71:72] offset1:16
	ds_write_b64 v61, v[10:11] offset:256
	ds_write2_b64 v55, v[63:64], v[65:66] offset1:16
	ds_write_b64 v55, v[18:19] offset:256
	ds_write2_b64 v62, v[67:68], v[78:79] offset1:16
	ds_write_b64 v62, v[30:31] offset:256
	v_lshrrev_b32_e32 v30, 4, v98
	s_and_saveexec_b64 s[8:9], s[2:3]
	s_cbranch_execz .LBB0_33
; %bb.32:
	v_add_f64 v[10:11], v[32:33], v[28:29]
	v_add_f64 v[18:19], v[6:7], -v[26:27]
	v_add_f64 v[46:47], v[8:9], v[32:33]
	v_fma_f64 v[8:9], v[10:11], -0.5, v[8:9]
	v_add_f64 v[10:11], v[46:47], v[28:29]
	v_fma_f64 v[46:47], v[18:19], s[0:1], v[8:9]
	v_fma_f64 v[8:9], v[18:19], s[6:7], v[8:9]
	v_mul_u32_u24_e32 v18, 48, v30
	v_or_b32_e32 v18, v18, v54
	v_lshl_add_u32 v18, v18, 3, 0
	ds_write2_b64 v18, v[10:11], v[46:47] offset1:16
	ds_write_b64 v18, v[8:9] offset:256
.LBB0_33:
	s_or_b64 exec, exec, s[8:9]
	v_add_f64 v[8:9], v[52:53], v[14:15]
	v_add_f64 v[10:11], v[44:45], v[16:17]
	;; [unrolled: 1-line block ×4, first 2 shown]
	v_add_f64 v[34:35], v[34:35], -v[38:39]
	v_add_f64 v[38:39], v[2:3], v[44:45]
	s_waitcnt lgkmcnt(0)
	; wave barrier
	s_waitcnt lgkmcnt(0)
	v_fma_f64 v[0:1], v[8:9], -0.5, v[0:1]
	v_fma_f64 v[2:3], v[10:11], -0.5, v[2:3]
	v_add_f64 v[10:11], v[24:25], v[42:43]
	v_add_f64 v[8:9], v[20:21], -v[40:41]
	v_add_f64 v[20:21], v[22:23], -v[36:37]
	v_fma_f64 v[22:23], v[46:47], -0.5, v[24:25]
	v_add_f64 v[36:37], v[18:19], v[14:15]
	v_add_f64 v[38:39], v[38:39], v[16:17]
	v_fma_f64 v[40:41], v[34:35], s[6:7], v[0:1]
	v_fma_f64 v[34:35], v[34:35], s[0:1], v[0:1]
	v_add_f64 v[46:47], v[10:11], v[12:13]
	v_add_u32_e32 v12, 0x800, v70
	v_fma_f64 v[42:43], v[8:9], s[6:7], v[2:3]
	v_fma_f64 v[44:45], v[8:9], s[0:1], v[2:3]
	;; [unrolled: 1-line block ×4, first 2 shown]
	ds_read2_b64 v[0:3], v70 offset1:48
	ds_read2_b64 v[8:11], v73 offset0:96 offset1:144
	ds_read2_b64 v[20:23], v70 offset0:192 offset1:240
	;; [unrolled: 1-line block ×4, first 2 shown]
	ds_read_b64 v[24:25], v70 offset:3840
	s_waitcnt lgkmcnt(0)
	; wave barrier
	s_waitcnt lgkmcnt(0)
	ds_write2_b64 v61, v[36:37], v[40:41] offset1:16
	ds_write_b64 v61, v[34:35] offset:256
	ds_write2_b64 v55, v[38:39], v[42:43] offset1:16
	ds_write_b64 v55, v[44:45] offset:256
	;; [unrolled: 2-line block ×3, first 2 shown]
	s_and_saveexec_b64 s[0:1], s[2:3]
	s_cbranch_execz .LBB0_35
; %bb.34:
	v_add_f64 v[34:35], v[6:7], v[26:27]
	v_add_f64 v[6:7], v[4:5], v[6:7]
	v_add_f64 v[28:29], v[32:33], -v[28:29]
	s_mov_b32 s3, 0xbfebb67a
	s_mov_b32 s2, 0xe8584caa
	v_fma_f64 v[4:5], v[34:35], -0.5, v[4:5]
	v_add_f64 v[6:7], v[6:7], v[26:27]
	v_fma_f64 v[26:27], v[28:29], s[2:3], v[4:5]
	s_mov_b32 s3, 0x3febb67a
	v_fma_f64 v[4:5], v[28:29], s[2:3], v[4:5]
	v_mul_u32_u24_e32 v28, 48, v30
	v_or_b32_e32 v28, v28, v54
	v_lshl_add_u32 v28, v28, 3, 0
	ds_write2_b64 v28, v[6:7], v[26:27] offset1:16
	ds_write_b64 v28, v[4:5] offset:256
.LBB0_35:
	s_or_b64 exec, exec, s[0:1]
	s_waitcnt lgkmcnt(0)
	; wave barrier
	s_waitcnt lgkmcnt(0)
	s_and_saveexec_b64 s[0:1], vcc
	s_cbranch_execz .LBB0_37
; %bb.36:
	v_mul_u32_u24_e32 v4, 10, v69
	v_lshlrev_b32_e32 v4, 4, v4
	global_load_dwordx4 v[26:29], v4, s[12:13] offset:768
	global_load_dwordx4 v[30:33], v4, s[12:13] offset:752
	;; [unrolled: 1-line block ×10, first 2 shown]
	ds_read2_b64 v[65:68], v70 offset0:192 offset1:240
	v_add_u32_e32 v34, 0x800, v70
	ds_read_b64 v[85:86], v70 offset:3840
	ds_read2_b64 v[4:7], v70 offset1:48
	ds_read2_b64 v[69:72], v73 offset0:96 offset1:144
	ds_read2_b64 v[73:76], v34 offset0:32 offset1:80
	;; [unrolled: 1-line block ×3, first 2 shown]
	s_mov_b32 s2, 0x9bcd5057
	s_mov_b32 s6, 0xfd768dbf
	;; [unrolled: 1-line block ×30, first 2 shown]
	s_waitcnt vmcnt(9)
	v_mul_f64 v[34:35], v[22:23], v[28:29]
	s_waitcnt lgkmcnt(5)
	v_mul_f64 v[28:29], v[67:68], v[28:29]
	s_waitcnt vmcnt(7)
	v_mul_f64 v[97:98], v[16:17], v[38:39]
	s_waitcnt lgkmcnt(1)
	v_mul_f64 v[38:39], v[73:74], v[38:39]
	s_waitcnt vmcnt(5)
	v_mul_f64 v[101:102], v[24:25], v[50:51]
	s_waitcnt vmcnt(4)
	v_mul_f64 v[103:104], v[2:3], v[54:55]
	v_mul_f64 v[40:41], v[20:21], v[32:33]
	;; [unrolled: 1-line block ×7, first 2 shown]
	s_waitcnt vmcnt(2)
	v_mul_f64 v[107:108], v[8:9], v[79:80]
	s_waitcnt vmcnt(0)
	v_mul_f64 v[111:112], v[14:15], v[89:90]
	s_waitcnt lgkmcnt(0)
	v_mul_f64 v[113:114], v[93:94], v[89:90]
	v_fma_f64 v[32:33], v[22:23], v[26:27], -v[28:29]
	v_fma_f64 v[28:29], v[16:17], v[36:37], -v[38:39]
	v_fma_f64 v[16:17], v[85:86], v[48:49], v[101:102]
	v_fma_f64 v[89:90], v[6:7], v[52:53], v[103:104]
	v_mul_f64 v[105:106], v[10:11], v[63:64]
	v_mul_f64 v[109:110], v[12:13], v[83:84]
	;; [unrolled: 1-line block ×4, first 2 shown]
	v_fma_f64 v[46:47], v[65:66], v[30:31], v[40:41]
	v_fma_f64 v[40:41], v[20:21], v[30:31], -v[95:96]
	v_fma_f64 v[22:23], v[75:76], v[42:43], v[99:100]
	v_fma_f64 v[20:21], v[18:19], v[42:43], -v[44:45]
	v_fma_f64 v[18:19], v[24:25], v[48:49], -v[50:51]
	;; [unrolled: 1-line block ×3, first 2 shown]
	v_fma_f64 v[75:76], v[69:70], v[77:78], v[107:108]
	v_fma_f64 v[2:3], v[93:94], v[87:88], v[111:112]
	v_add_f64 v[107:108], v[89:90], v[16:17]
	v_add_f64 v[93:94], v[89:90], -v[16:17]
	v_mul_f64 v[63:64], v[71:72], v[63:64]
	v_fma_f64 v[34:35], v[67:68], v[26:27], v[34:35]
	v_fma_f64 v[65:66], v[71:72], v[61:62], v[105:106]
	v_fma_f64 v[77:78], v[8:9], v[77:78], -v[79:80]
	v_fma_f64 v[14:15], v[14:15], v[87:88], -v[113:114]
	v_fma_f64 v[24:25], v[91:92], v[81:82], v[109:110]
	v_fma_f64 v[26:27], v[12:13], v[81:82], -v[83:84]
	v_add_f64 v[83:84], v[75:76], v[2:3]
	v_add_f64 v[91:92], v[85:86], -v[18:19]
	v_add_f64 v[87:88], v[85:86], v[18:19]
	v_add_f64 v[71:72], v[75:76], -v[2:3]
	v_mul_f64 v[6:7], v[107:108], s[2:3]
	v_mul_f64 v[8:9], v[93:94], s[8:9]
	v_fma_f64 v[30:31], v[73:74], v[36:37], v[97:98]
	v_fma_f64 v[69:70], v[10:11], v[61:62], -v[63:64]
	v_add_f64 v[63:64], v[77:78], -v[14:15]
	v_add_f64 v[54:55], v[77:78], v[14:15]
	v_add_f64 v[81:82], v[65:66], v[24:25]
	v_add_f64 v[67:68], v[65:66], -v[24:25]
	v_mul_f64 v[10:11], v[83:84], s[0:1]
	v_mul_f64 v[12:13], v[71:72], s[12:13]
	v_fma_f64 v[97:98], v[91:92], s[6:7], v[6:7]
	v_fma_f64 v[101:102], v[87:88], s[2:3], v[8:9]
	v_add_f64 v[61:62], v[69:70], -v[26:27]
	v_add_f64 v[44:45], v[69:70], v[26:27]
	v_add_f64 v[52:53], v[46:47], -v[22:23]
	v_mul_f64 v[95:96], v[81:82], s[14:15]
	v_mul_f64 v[99:100], v[67:68], s[16:17]
	v_fma_f64 v[111:112], v[63:64], s[34:35], v[10:11]
	v_fma_f64 v[6:7], v[91:92], s[8:9], v[6:7]
	v_add_f64 v[97:98], v[4:5], v[97:98]
	v_fma_f64 v[113:114], v[54:55], s[0:1], v[12:13]
	v_add_f64 v[101:102], v[0:1], v[101:102]
	v_add_f64 v[73:74], v[46:47], v[22:23]
	v_add_f64 v[38:39], v[40:41], v[20:21]
	v_mul_f64 v[105:106], v[52:53], s[30:31]
	v_fma_f64 v[8:9], v[87:88], s[2:3], -v[8:9]
	v_fma_f64 v[10:11], v[63:64], s[12:13], v[10:11]
	v_fma_f64 v[117:118], v[61:62], s[18:19], v[95:96]
	v_add_f64 v[6:7], v[4:5], v[6:7]
	v_add_f64 v[97:98], v[111:112], v[97:98]
	v_fma_f64 v[111:112], v[44:45], s[14:15], v[99:100]
	v_add_f64 v[101:102], v[113:114], v[101:102]
	v_add_f64 v[48:49], v[40:41], -v[20:21]
	v_add_f64 v[42:43], v[34:35], v[30:31]
	v_add_f64 v[50:51], v[34:35], -v[30:31]
	v_mul_f64 v[103:104], v[73:74], s[22:23]
	v_fma_f64 v[12:13], v[54:55], s[0:1], -v[12:13]
	v_fma_f64 v[95:96], v[61:62], s[16:17], v[95:96]
	v_add_f64 v[8:9], v[0:1], v[8:9]
	v_add_f64 v[6:7], v[10:11], v[6:7]
	;; [unrolled: 1-line block ×3, first 2 shown]
	v_fma_f64 v[97:98], v[38:39], s[22:23], v[105:106]
	v_add_f64 v[101:102], v[111:112], v[101:102]
	v_mul_f64 v[111:112], v[107:108], s[14:15]
	v_mul_f64 v[117:118], v[93:94], s[16:17]
	v_add_f64 v[36:37], v[32:33], -v[28:29]
	v_add_f64 v[79:80], v[32:33], v[28:29]
	v_mul_f64 v[109:110], v[42:43], s[20:21]
	v_mul_f64 v[115:116], v[50:51], s[26:27]
	v_fma_f64 v[113:114], v[48:49], s[24:25], v[103:104]
	v_fma_f64 v[99:100], v[44:45], s[14:15], -v[99:100]
	v_add_f64 v[8:9], v[12:13], v[8:9]
	v_add_f64 v[12:13], v[95:96], v[6:7]
	;; [unrolled: 1-line block ×3, first 2 shown]
	v_fma_f64 v[97:98], v[91:92], s[18:19], v[111:112]
	v_mul_f64 v[101:102], v[83:84], s[20:21]
	v_fma_f64 v[119:120], v[87:88], s[14:15], v[117:118]
	v_mul_f64 v[121:122], v[71:72], s[28:29]
	v_add_f64 v[6:7], v[113:114], v[10:11]
	v_fma_f64 v[10:11], v[36:37], s[28:29], v[109:110]
	v_fma_f64 v[113:114], v[79:80], s[20:21], v[115:116]
	v_add_f64 v[99:100], v[99:100], v[8:9]
	v_fma_f64 v[103:104], v[48:49], s[30:31], v[103:104]
	v_fma_f64 v[105:106], v[38:39], s[22:23], -v[105:106]
	v_add_f64 v[97:98], v[4:5], v[97:98]
	v_fma_f64 v[123:124], v[63:64], s[26:27], v[101:102]
	v_mul_f64 v[125:126], v[81:82], s[0:1]
	v_add_f64 v[119:120], v[0:1], v[119:120]
	v_fma_f64 v[127:128], v[54:55], s[20:21], v[121:122]
	v_mul_f64 v[129:130], v[67:68], s[34:35]
	v_add_f64 v[8:9], v[10:11], v[6:7]
	v_add_f64 v[6:7], v[113:114], v[95:96]
	;; [unrolled: 1-line block ×4, first 2 shown]
	v_fma_f64 v[95:96], v[61:62], s[12:13], v[125:126]
	v_mul_f64 v[103:104], v[73:74], s[2:3]
	v_add_f64 v[97:98], v[127:128], v[119:120]
	v_fma_f64 v[113:114], v[44:45], s[0:1], v[129:130]
	v_mul_f64 v[119:120], v[52:53], s[8:9]
	v_add_f64 v[99:100], v[105:106], v[99:100]
	v_fma_f64 v[105:106], v[36:37], s[26:27], v[109:110]
	v_fma_f64 v[109:110], v[79:80], s[20:21], -v[115:116]
	v_fma_f64 v[111:112], v[91:92], s[16:17], v[111:112]
	v_add_f64 v[95:96], v[95:96], v[12:13]
	v_fma_f64 v[115:116], v[48:49], s[6:7], v[103:104]
	v_add_f64 v[97:98], v[113:114], v[97:98]
	v_fma_f64 v[113:114], v[38:39], s[2:3], v[119:120]
	v_mul_f64 v[123:124], v[42:43], s[22:23]
	v_add_f64 v[12:13], v[105:106], v[10:11]
	v_add_f64 v[10:11], v[109:110], v[99:100]
	v_fma_f64 v[99:100], v[63:64], s[28:29], v[101:102]
	v_fma_f64 v[101:102], v[87:88], s[14:15], -v[117:118]
	v_add_f64 v[105:106], v[4:5], v[111:112]
	v_add_f64 v[95:96], v[115:116], v[95:96]
	;; [unrolled: 1-line block ×3, first 2 shown]
	v_mul_f64 v[113:114], v[107:108], s[20:21]
	v_fma_f64 v[115:116], v[54:55], s[20:21], -v[121:122]
	v_mul_f64 v[117:118], v[93:94], s[26:27]
	v_fma_f64 v[97:98], v[36:37], s[24:25], v[123:124]
	v_add_f64 v[101:102], v[0:1], v[101:102]
	v_add_f64 v[99:100], v[99:100], v[105:106]
	v_fma_f64 v[105:106], v[61:62], s[34:35], v[125:126]
	v_mul_f64 v[111:112], v[50:51], s[30:31]
	v_fma_f64 v[121:122], v[91:92], s[28:29], v[113:114]
	v_mul_f64 v[125:126], v[83:84], s[2:3]
	v_mul_f64 v[127:128], v[71:72], s[6:7]
	v_add_f64 v[97:98], v[97:98], v[95:96]
	v_add_f64 v[101:102], v[115:116], v[101:102]
	v_fma_f64 v[115:116], v[44:45], s[0:1], -v[129:130]
	v_add_f64 v[99:100], v[105:106], v[99:100]
	v_fma_f64 v[105:106], v[87:88], s[20:21], v[117:118]
	v_fma_f64 v[95:96], v[79:80], s[22:23], v[111:112]
	;; [unrolled: 1-line block ×3, first 2 shown]
	v_add_f64 v[121:122], v[4:5], v[121:122]
	v_fma_f64 v[129:130], v[63:64], s[8:9], v[125:126]
	v_mul_f64 v[131:132], v[81:82], s[22:23]
	v_add_f64 v[101:102], v[115:116], v[101:102]
	v_fma_f64 v[115:116], v[38:39], s[2:3], -v[119:120]
	v_add_f64 v[105:106], v[0:1], v[105:106]
	v_fma_f64 v[119:120], v[54:55], s[2:3], v[127:128]
	v_mul_f64 v[133:134], v[67:68], s[30:31]
	v_add_f64 v[95:96], v[95:96], v[109:110]
	v_add_f64 v[109:110], v[129:130], v[121:122]
	v_fma_f64 v[121:122], v[61:62], s[24:25], v[131:132]
	v_add_f64 v[99:100], v[103:104], v[99:100]
	v_mul_f64 v[103:104], v[73:74], s[0:1]
	v_add_f64 v[115:116], v[115:116], v[101:102]
	v_add_f64 v[101:102], v[119:120], v[105:106]
	v_fma_f64 v[105:106], v[44:45], s[22:23], v[133:134]
	v_mul_f64 v[119:120], v[52:53], s[34:35]
	v_fma_f64 v[123:124], v[36:37], s[30:31], v[123:124]
	v_add_f64 v[109:110], v[121:122], v[109:110]
	v_fma_f64 v[113:114], v[91:92], s[26:27], v[113:114]
	v_fma_f64 v[121:122], v[48:49], s[12:13], v[103:104]
	v_mul_f64 v[129:130], v[42:43], s[14:15]
	v_fma_f64 v[111:112], v[79:80], s[22:23], -v[111:112]
	v_add_f64 v[105:106], v[105:106], v[101:102]
	v_fma_f64 v[135:136], v[38:39], s[0:1], v[119:120]
	v_add_f64 v[101:102], v[123:124], v[99:100]
	v_fma_f64 v[123:124], v[63:64], s[6:7], v[125:126]
	v_add_f64 v[113:114], v[4:5], v[113:114]
	v_add_f64 v[109:110], v[121:122], v[109:110]
	v_fma_f64 v[121:122], v[36:37], s[18:19], v[129:130]
	v_add_f64 v[99:100], v[111:112], v[115:116]
	v_mul_f64 v[111:112], v[107:108], s[22:23]
	v_add_f64 v[115:116], v[135:136], v[105:106]
	v_mul_f64 v[135:136], v[93:94], s[24:25]
	v_mul_f64 v[139:140], v[71:72], s[16:17]
	v_add_f64 v[113:114], v[123:124], v[113:114]
	v_fma_f64 v[123:124], v[61:62], s[30:31], v[131:132]
	v_add_f64 v[105:106], v[121:122], v[109:110]
	v_fma_f64 v[109:110], v[87:88], s[20:21], -v[117:118]
	v_fma_f64 v[117:118], v[91:92], s[30:31], v[111:112]
	v_mul_f64 v[121:122], v[83:84], s[14:15]
	v_fma_f64 v[137:138], v[87:88], s[22:23], v[135:136]
	v_mul_f64 v[125:126], v[50:51], s[16:17]
	v_mul_f64 v[141:142], v[81:82], s[2:3]
	v_add_f64 v[113:114], v[123:124], v[113:114]
	v_fma_f64 v[123:124], v[54:55], s[2:3], -v[127:128]
	v_add_f64 v[109:110], v[0:1], v[109:110]
	v_add_f64 v[117:118], v[4:5], v[117:118]
	v_fma_f64 v[127:128], v[63:64], s[18:19], v[121:122]
	v_add_f64 v[137:138], v[0:1], v[137:138]
	v_fma_f64 v[143:144], v[54:55], s[14:15], v[139:140]
	v_mul_f64 v[145:146], v[67:68], s[6:7]
	v_fma_f64 v[131:132], v[79:80], s[14:15], v[125:126]
	v_fma_f64 v[147:148], v[48:49], s[34:35], v[103:104]
	v_add_f64 v[109:110], v[123:124], v[109:110]
	v_fma_f64 v[123:124], v[44:45], s[22:23], -v[133:134]
	v_add_f64 v[117:118], v[127:128], v[117:118]
	v_fma_f64 v[127:128], v[61:62], s[8:9], v[141:142]
	v_mul_f64 v[133:134], v[73:74], s[20:21]
	v_add_f64 v[137:138], v[143:144], v[137:138]
	v_fma_f64 v[143:144], v[44:45], s[2:3], v[145:146]
	v_mul_f64 v[149:150], v[52:53], s[28:29]
	v_add_f64 v[103:104], v[131:132], v[115:116]
	v_add_f64 v[113:114], v[147:148], v[113:114]
	;; [unrolled: 1-line block ×3, first 2 shown]
	v_fma_f64 v[115:116], v[38:39], s[0:1], -v[119:120]
	v_add_f64 v[117:118], v[127:128], v[117:118]
	v_fma_f64 v[119:120], v[48:49], s[26:27], v[133:134]
	v_add_f64 v[123:124], v[143:144], v[137:138]
	v_fma_f64 v[127:128], v[38:39], s[20:21], v[149:150]
	v_mul_f64 v[131:132], v[42:43], s[0:1]
	v_mul_f64 v[137:138], v[50:51], s[12:13]
	v_fma_f64 v[129:130], v[36:37], s[16:17], v[129:130]
	v_mul_f64 v[107:108], v[107:108], s[0:1]
	v_add_f64 v[115:116], v[115:116], v[109:110]
	v_add_f64 v[117:118], v[119:120], v[117:118]
	v_fma_f64 v[111:112], v[91:92], s[24:25], v[111:112]
	v_add_f64 v[119:120], v[127:128], v[123:124]
	v_fma_f64 v[123:124], v[36:37], s[34:35], v[131:132]
	v_fma_f64 v[127:128], v[79:80], s[0:1], v[137:138]
	v_add_f64 v[109:110], v[129:130], v[113:114]
	v_fma_f64 v[129:130], v[91:92], s[12:13], v[107:108]
	v_fma_f64 v[143:144], v[91:92], s[34:35], v[107:108]
	v_mul_f64 v[113:114], v[93:94], s[34:35]
	v_add_f64 v[111:112], v[4:5], v[111:112]
	v_add_f64 v[85:86], v[0:1], v[85:86]
	;; [unrolled: 1-line block ×4, first 2 shown]
	v_fma_f64 v[125:126], v[79:80], s[14:15], -v[125:126]
	v_add_f64 v[119:120], v[4:5], v[129:130]
	v_add_f64 v[123:124], v[4:5], v[143:144]
	;; [unrolled: 1-line block ×3, first 2 shown]
	v_fma_f64 v[117:118], v[87:88], s[0:1], v[113:114]
	v_add_f64 v[77:78], v[77:78], v[85:86]
	v_fma_f64 v[89:90], v[63:64], s[16:17], v[121:122]
	v_mul_f64 v[71:72], v[71:72], s[24:25]
	v_add_f64 v[107:108], v[125:126], v[115:116]
	v_fma_f64 v[115:116], v[87:88], s[22:23], -v[135:136]
	v_fma_f64 v[87:88], v[87:88], s[0:1], -v[113:114]
	v_add_f64 v[4:5], v[75:76], v[4:5]
	v_mul_f64 v[83:84], v[83:84], s[22:23]
	v_add_f64 v[69:70], v[69:70], v[77:78]
	v_add_f64 v[89:90], v[89:90], v[111:112]
	v_fma_f64 v[111:112], v[61:62], s[6:7], v[141:142]
	v_mul_f64 v[81:82], v[81:82], s[20:21]
	v_add_f64 v[113:114], v[0:1], v[115:116]
	v_add_f64 v[115:116], v[0:1], v[117:118]
	;; [unrolled: 1-line block ×3, first 2 shown]
	v_fma_f64 v[117:118], v[54:55], s[14:15], -v[139:140]
	v_add_f64 v[40:41], v[40:41], v[69:70]
	v_fma_f64 v[65:66], v[48:49], s[28:29], v[133:134]
	v_add_f64 v[75:76], v[111:112], v[89:90]
	v_fma_f64 v[89:90], v[44:45], s[2:3], -v[145:146]
	v_add_f64 v[0:1], v[0:1], v[87:88]
	v_fma_f64 v[87:88], v[63:64], s[30:31], v[83:84]
	v_add_f64 v[4:5], v[46:47], v[4:5]
	v_add_f64 v[85:86], v[117:118], v[113:114]
	;; [unrolled: 1-line block ×3, first 2 shown]
	v_mul_f64 v[46:47], v[67:68], s[26:27]
	v_add_f64 v[65:66], v[65:66], v[75:76]
	v_fma_f64 v[63:64], v[63:64], s[24:25], v[83:84]
	v_fma_f64 v[111:112], v[61:62], s[28:29], v[81:82]
	v_add_f64 v[87:88], v[87:88], v[119:120]
	v_add_f64 v[4:5], v[34:35], v[4:5]
	;; [unrolled: 1-line block ×3, first 2 shown]
	v_fma_f64 v[89:90], v[54:55], s[22:23], v[71:72]
	v_add_f64 v[28:29], v[28:29], v[32:33]
	v_fma_f64 v[34:35], v[44:45], s[20:21], v[46:47]
	v_fma_f64 v[54:55], v[54:55], s[22:23], -v[71:72]
	v_mul_f64 v[73:74], v[73:74], s[14:15]
	v_fma_f64 v[61:62], v[61:62], s[26:27], v[81:82]
	v_add_f64 v[4:5], v[30:31], v[4:5]
	v_add_f64 v[63:64], v[63:64], v[123:124]
	;; [unrolled: 1-line block ×4, first 2 shown]
	v_mul_f64 v[52:53], v[52:53], s[16:17]
	v_add_f64 v[0:1], v[54:55], v[0:1]
	v_fma_f64 v[85:86], v[38:39], s[20:21], -v[149:150]
	v_add_f64 v[87:88], v[111:112], v[87:88]
	v_add_f64 v[4:5], v[22:23], v[4:5]
	v_fma_f64 v[67:68], v[48:49], s[18:19], v[73:74]
	v_add_f64 v[30:31], v[34:35], v[75:76]
	v_fma_f64 v[34:35], v[44:45], s[20:21], -v[46:47]
	v_add_f64 v[20:21], v[26:27], v[20:21]
	v_fma_f64 v[32:33], v[48:49], s[16:17], v[73:74]
	v_add_f64 v[44:45], v[61:62], v[63:64]
	v_fma_f64 v[46:47], v[38:39], s[14:15], v[52:53]
	v_add_f64 v[4:5], v[24:25], v[4:5]
	v_mul_f64 v[22:23], v[42:43], s[2:3]
	v_mul_f64 v[28:29], v[50:51], s[8:9]
	v_fma_f64 v[38:39], v[38:39], s[14:15], -v[52:53]
	v_add_f64 v[0:1], v[34:35], v[0:1]
	v_add_f64 v[14:15], v[14:15], v[20:21]
	v_mul_lo_u32 v121, s5, v58
	v_mul_lo_u32 v122, s4, v59
	v_add_f64 v[4:5], v[2:3], v[4:5]
	v_mad_u64_u32 v[58:59], s[4:5], s4, v58, 0
	v_add_f64 v[40:41], v[67:68], v[87:88]
	v_fma_f64 v[34:35], v[36:37], s[12:13], v[131:132]
	v_fma_f64 v[24:25], v[36:37], s[6:7], v[22:23]
	;; [unrolled: 1-line block ×3, first 2 shown]
	v_add_f64 v[30:31], v[46:47], v[30:31]
	v_fma_f64 v[36:37], v[36:37], s[8:9], v[22:23]
	v_add_f64 v[32:33], v[32:33], v[44:45]
	v_fma_f64 v[28:29], v[79:80], s[2:3], -v[28:29]
	v_add_f64 v[38:39], v[38:39], v[0:1]
	v_add_f64 v[69:70], v[85:86], v[77:78]
	v_fma_f64 v[42:43], v[79:80], s[0:1], -v[137:138]
	v_add3_u32 v59, v59, v122, v121
	v_add_f64 v[16:17], v[16:17], v[4:5]
	v_lshlrev_b64 v[4:5], 4, v[58:59]
	v_add_f64 v[14:15], v[18:19], v[14:15]
	v_mov_b32_e32 v18, s11
	v_add_co_u32_e32 v19, vcc, s10, v4
	v_add_f64 v[22:23], v[24:25], v[40:41]
	v_add_f64 v[20:21], v[26:27], v[30:31]
	;; [unrolled: 1-line block ×4, first 2 shown]
	v_addc_co_u32_e32 v18, vcc, v18, v5, vcc
	v_lshlrev_b64 v[4:5], 4, v[56:57]
	v_add_f64 v[2:3], v[34:35], v[65:66]
	v_add_f64 v[0:1], v[42:43], v[69:70]
	v_mov_b32_e32 v61, 0
	v_add_co_u32_e32 v19, vcc, v19, v4
	v_addc_co_u32_e32 v18, vcc, v18, v5, vcc
	v_lshlrev_b64 v[4:5], 4, v[60:61]
	s_movk_i32 s0, 0x1000
	v_add_co_u32_e32 v4, vcc, v19, v4
	v_addc_co_u32_e32 v5, vcc, v18, v5, vcc
	v_or_b32_e32 v60, 0x180, v60
	global_store_dwordx4 v[4:5], v[14:17], off
	global_store_dwordx4 v[4:5], v[24:27], off offset:768
	global_store_dwordx4 v[4:5], v[0:3], off offset:1536
	;; [unrolled: 1-line block ×5, first 2 shown]
	v_add_co_u32_e32 v0, vcc, s0, v4
	v_lshlrev_b64 v[2:3], 4, v[60:61]
	v_addc_co_u32_e32 v1, vcc, 0, v5, vcc
	v_add_co_u32_e32 v2, vcc, v19, v2
	v_addc_co_u32_e32 v3, vcc, v18, v3, vcc
	global_store_dwordx4 v[0:1], v[6:9], off offset:512
	global_store_dwordx4 v[0:1], v[95:98], off offset:1280
	global_store_dwordx4 v[2:3], v[103:106], off
	global_store_dwordx4 v[0:1], v[91:94], off offset:2816
	global_store_dwordx4 v[0:1], v[20:23], off offset:3584
.LBB0_37:
	s_endpgm
	.section	.rodata,"a",@progbits
	.p2align	6, 0x0
	.amdhsa_kernel fft_rtc_fwd_len528_factors_4_4_3_11_wgs_48_tpt_48_halfLds_dp_op_CI_CI_unitstride_sbrr_dirReg
		.amdhsa_group_segment_fixed_size 0
		.amdhsa_private_segment_fixed_size 0
		.amdhsa_kernarg_size 104
		.amdhsa_user_sgpr_count 6
		.amdhsa_user_sgpr_private_segment_buffer 1
		.amdhsa_user_sgpr_dispatch_ptr 0
		.amdhsa_user_sgpr_queue_ptr 0
		.amdhsa_user_sgpr_kernarg_segment_ptr 1
		.amdhsa_user_sgpr_dispatch_id 0
		.amdhsa_user_sgpr_flat_scratch_init 0
		.amdhsa_user_sgpr_private_segment_size 0
		.amdhsa_uses_dynamic_stack 0
		.amdhsa_system_sgpr_private_segment_wavefront_offset 0
		.amdhsa_system_sgpr_workgroup_id_x 1
		.amdhsa_system_sgpr_workgroup_id_y 0
		.amdhsa_system_sgpr_workgroup_id_z 0
		.amdhsa_system_sgpr_workgroup_info 0
		.amdhsa_system_vgpr_workitem_id 0
		.amdhsa_next_free_vgpr 151
		.amdhsa_next_free_sgpr 36
		.amdhsa_reserve_vcc 1
		.amdhsa_reserve_flat_scratch 0
		.amdhsa_float_round_mode_32 0
		.amdhsa_float_round_mode_16_64 0
		.amdhsa_float_denorm_mode_32 3
		.amdhsa_float_denorm_mode_16_64 3
		.amdhsa_dx10_clamp 1
		.amdhsa_ieee_mode 1
		.amdhsa_fp16_overflow 0
		.amdhsa_exception_fp_ieee_invalid_op 0
		.amdhsa_exception_fp_denorm_src 0
		.amdhsa_exception_fp_ieee_div_zero 0
		.amdhsa_exception_fp_ieee_overflow 0
		.amdhsa_exception_fp_ieee_underflow 0
		.amdhsa_exception_fp_ieee_inexact 0
		.amdhsa_exception_int_div_zero 0
	.end_amdhsa_kernel
	.text
.Lfunc_end0:
	.size	fft_rtc_fwd_len528_factors_4_4_3_11_wgs_48_tpt_48_halfLds_dp_op_CI_CI_unitstride_sbrr_dirReg, .Lfunc_end0-fft_rtc_fwd_len528_factors_4_4_3_11_wgs_48_tpt_48_halfLds_dp_op_CI_CI_unitstride_sbrr_dirReg
                                        ; -- End function
	.section	.AMDGPU.csdata,"",@progbits
; Kernel info:
; codeLenInByte = 7760
; NumSgprs: 40
; NumVgprs: 151
; ScratchSize: 0
; MemoryBound: 1
; FloatMode: 240
; IeeeMode: 1
; LDSByteSize: 0 bytes/workgroup (compile time only)
; SGPRBlocks: 4
; VGPRBlocks: 37
; NumSGPRsForWavesPerEU: 40
; NumVGPRsForWavesPerEU: 151
; Occupancy: 1
; WaveLimiterHint : 1
; COMPUTE_PGM_RSRC2:SCRATCH_EN: 0
; COMPUTE_PGM_RSRC2:USER_SGPR: 6
; COMPUTE_PGM_RSRC2:TRAP_HANDLER: 0
; COMPUTE_PGM_RSRC2:TGID_X_EN: 1
; COMPUTE_PGM_RSRC2:TGID_Y_EN: 0
; COMPUTE_PGM_RSRC2:TGID_Z_EN: 0
; COMPUTE_PGM_RSRC2:TIDIG_COMP_CNT: 0
	.type	__hip_cuid_bb7417d88bbb663a,@object ; @__hip_cuid_bb7417d88bbb663a
	.section	.bss,"aw",@nobits
	.globl	__hip_cuid_bb7417d88bbb663a
__hip_cuid_bb7417d88bbb663a:
	.byte	0                               ; 0x0
	.size	__hip_cuid_bb7417d88bbb663a, 1

	.ident	"AMD clang version 19.0.0git (https://github.com/RadeonOpenCompute/llvm-project roc-6.4.0 25133 c7fe45cf4b819c5991fe208aaa96edf142730f1d)"
	.section	".note.GNU-stack","",@progbits
	.addrsig
	.addrsig_sym __hip_cuid_bb7417d88bbb663a
	.amdgpu_metadata
---
amdhsa.kernels:
  - .args:
      - .actual_access:  read_only
        .address_space:  global
        .offset:         0
        .size:           8
        .value_kind:     global_buffer
      - .offset:         8
        .size:           8
        .value_kind:     by_value
      - .actual_access:  read_only
        .address_space:  global
        .offset:         16
        .size:           8
        .value_kind:     global_buffer
      - .actual_access:  read_only
        .address_space:  global
        .offset:         24
        .size:           8
        .value_kind:     global_buffer
      - .actual_access:  read_only
        .address_space:  global
        .offset:         32
        .size:           8
        .value_kind:     global_buffer
      - .offset:         40
        .size:           8
        .value_kind:     by_value
      - .actual_access:  read_only
        .address_space:  global
        .offset:         48
        .size:           8
        .value_kind:     global_buffer
      - .actual_access:  read_only
        .address_space:  global
        .offset:         56
        .size:           8
        .value_kind:     global_buffer
      - .offset:         64
        .size:           4
        .value_kind:     by_value
      - .actual_access:  read_only
        .address_space:  global
        .offset:         72
        .size:           8
        .value_kind:     global_buffer
      - .actual_access:  read_only
        .address_space:  global
        .offset:         80
        .size:           8
        .value_kind:     global_buffer
      - .actual_access:  read_only
        .address_space:  global
        .offset:         88
        .size:           8
        .value_kind:     global_buffer
      - .actual_access:  write_only
        .address_space:  global
        .offset:         96
        .size:           8
        .value_kind:     global_buffer
    .group_segment_fixed_size: 0
    .kernarg_segment_align: 8
    .kernarg_segment_size: 104
    .language:       OpenCL C
    .language_version:
      - 2
      - 0
    .max_flat_workgroup_size: 48
    .name:           fft_rtc_fwd_len528_factors_4_4_3_11_wgs_48_tpt_48_halfLds_dp_op_CI_CI_unitstride_sbrr_dirReg
    .private_segment_fixed_size: 0
    .sgpr_count:     40
    .sgpr_spill_count: 0
    .symbol:         fft_rtc_fwd_len528_factors_4_4_3_11_wgs_48_tpt_48_halfLds_dp_op_CI_CI_unitstride_sbrr_dirReg.kd
    .uniform_work_group_size: 1
    .uses_dynamic_stack: false
    .vgpr_count:     151
    .vgpr_spill_count: 0
    .wavefront_size: 64
amdhsa.target:   amdgcn-amd-amdhsa--gfx906
amdhsa.version:
  - 1
  - 2
...

	.end_amdgpu_metadata
